;; amdgpu-corpus repo=ROCm/rocFFT kind=compiled arch=gfx950 opt=O3
	.text
	.amdgcn_target "amdgcn-amd-amdhsa--gfx950"
	.amdhsa_code_object_version 6
	.protected	bluestein_single_fwd_len294_dim1_sp_op_CI_CI ; -- Begin function bluestein_single_fwd_len294_dim1_sp_op_CI_CI
	.globl	bluestein_single_fwd_len294_dim1_sp_op_CI_CI
	.p2align	8
	.type	bluestein_single_fwd_len294_dim1_sp_op_CI_CI,@function
bluestein_single_fwd_len294_dim1_sp_op_CI_CI: ; @bluestein_single_fwd_len294_dim1_sp_op_CI_CI
; %bb.0:
	s_load_dwordx4 s[12:15], s[0:1], 0x28
	v_mul_u32_u24_e32 v1, 0x619, v0
	v_lshrrev_b32_e32 v2, 16, v1
	v_mad_u64_u32 v[54:55], s[2:3], s2, 3, v[2:3]
	v_mov_b32_e32 v51, 0
	v_mov_b32_e32 v55, v51
	s_waitcnt lgkmcnt(0)
	v_cmp_gt_u64_e32 vcc, s[12:13], v[54:55]
	s_and_saveexec_b64 s[2:3], vcc
	s_cbranch_execz .LBB0_15
; %bb.1:
	s_load_dwordx4 s[4:7], s[0:1], 0x18
	s_load_dwordx2 s[12:13], s[0:1], 0x0
	v_mul_lo_u16_e32 v1, 42, v2
	v_sub_u16_e32 v50, v0, v1
	v_mov_b32_e32 v4, s14
	s_waitcnt lgkmcnt(0)
	s_load_dwordx4 s[8:11], s[4:5], 0x0
	v_mov_b32_e32 v5, s15
	s_mov_b32 s4, 0xaaaaaaab
	v_mul_hi_u32 v16, v54, s4
	v_lshrrev_b32_e32 v16, 1, v16
	s_waitcnt lgkmcnt(0)
	v_mad_u64_u32 v[0:1], s[2:3], s10, v54, 0
	v_mov_b32_e32 v2, v1
	v_mad_u64_u32 v[2:3], s[2:3], s11, v54, v[2:3]
	v_mov_b32_e32 v1, v2
	;; [unrolled: 2-line block ×3, first 2 shown]
	v_mad_u64_u32 v[6:7], s[2:3], s9, v50, v[6:7]
	s_mul_i32 s2, s9, 49
	s_mul_hi_u32 s3, s8, 49
	v_mov_b32_e32 v3, v6
	v_lshl_add_u64 v[0:1], v[0:1], 3, v[4:5]
	s_add_i32 s3, s3, s2
	s_mul_i32 s2, s8, 49
	v_lshl_add_u64 v[0:1], v[2:3], 3, v[0:1]
	v_lshlrev_b32_e32 v2, 3, v50
	s_lshl_b64 s[10:11], s[2:3], 3
	global_load_dwordx2 v[64:65], v2, s[12:13]
	global_load_dwordx2 v[4:5], v[0:1], off
	v_lshl_add_u64 v[0:1], v[0:1], 0, s[10:11]
	global_load_dwordx2 v[6:7], v[0:1], off
	global_load_dwordx2 v[62:63], v2, s[12:13] offset:392
	v_lshl_add_u64 v[0:1], v[0:1], 0, s[10:11]
	global_load_dwordx2 v[60:61], v2, s[12:13] offset:784
	global_load_dwordx2 v[8:9], v[0:1], off
	v_lshl_add_u64 v[0:1], v[0:1], 0, s[10:11]
	global_load_dwordx2 v[10:11], v[0:1], off
	global_load_dwordx2 v[58:59], v2, s[12:13] offset:1176
	v_lshl_add_u64 v[0:1], v[0:1], 0, s[10:11]
	global_load_dwordx2 v[12:13], v[0:1], off
	global_load_dwordx2 v[56:57], v2, s[12:13] offset:1568
	v_lshl_add_u64 v[0:1], v[0:1], 0, s[10:11]
	global_load_dwordx2 v[52:53], v2, s[12:13] offset:1960
	global_load_dwordx2 v[14:15], v[0:1], off
	v_lshl_add_u32 v16, v16, 1, v16
	v_sub_u32_e32 v16, v54, v16
	v_mul_u32_u24_e32 v16, 0x126, v16
	v_mov_b32_e32 v3, v51
	v_lshlrev_b32_e32 v66, 3, v16
	v_lshl_add_u64 v[48:49], s[12:13], 0, v[2:3]
	v_add_u32_e32 v55, v2, v66
	s_load_dwordx2 s[2:3], s[0:1], 0x38
	v_cmp_gt_u16_e32 vcc, 7, v50
	s_load_dwordx4 s[4:7], s[6:7], 0x0
	s_waitcnt vmcnt(10)
	v_mul_f32_e32 v2, v5, v65
	v_mul_f32_e32 v3, v4, v65
	v_fmac_f32_e32 v2, v4, v64
	v_fma_f32 v3, v5, v64, -v3
	s_waitcnt vmcnt(8)
	v_mul_f32_e32 v4, v7, v63
	v_mul_f32_e32 v5, v6, v63
	v_fmac_f32_e32 v4, v6, v62
	v_fma_f32 v5, v7, v62, -v5
	s_waitcnt vmcnt(6)
	v_mul_f32_e32 v6, v9, v61
	v_mul_f32_e32 v7, v8, v61
	ds_write2_b64 v55, v[2:3], v[4:5] offset1:49
	s_waitcnt vmcnt(4)
	v_mul_f32_e32 v2, v11, v59
	v_mul_f32_e32 v3, v10, v59
	v_fmac_f32_e32 v6, v8, v60
	v_fma_f32 v7, v9, v60, -v7
	v_fmac_f32_e32 v2, v10, v58
	v_fma_f32 v3, v11, v58, -v3
	s_waitcnt vmcnt(2)
	v_mul_f32_e32 v4, v13, v57
	v_mul_f32_e32 v5, v12, v57
	ds_write2_b64 v55, v[6:7], v[2:3] offset0:98 offset1:147
	s_waitcnt vmcnt(0)
	v_mul_f32_e32 v2, v15, v53
	v_mul_f32_e32 v3, v14, v53
	v_fmac_f32_e32 v4, v12, v56
	v_fma_f32 v5, v13, v56, -v5
	v_fmac_f32_e32 v2, v14, v52
	v_fma_f32 v3, v15, v52, -v3
	ds_write2_b64 v55, v[4:5], v[2:3] offset0:196 offset1:245
	s_and_saveexec_b64 s[14:15], vcc
	s_cbranch_execz .LBB0_3
; %bb.2:
	v_mov_b32_e32 v2, 0xfffff9a8
	s_mulk_i32 s9, 0xf9a8
	v_mad_u64_u32 v[0:1], s[16:17], s8, v2, v[0:1]
	s_sub_i32 s8, s9, s8
	v_add_u32_e32 v1, s8, v1
	global_load_dwordx2 v[2:3], v[0:1], off
	global_load_dwordx2 v[4:5], v[48:49], off offset:336
	v_lshl_add_u64 v[0:1], v[0:1], 0, s[10:11]
	global_load_dwordx2 v[6:7], v[0:1], off
	global_load_dwordx2 v[8:9], v[48:49], off offset:728
	v_lshl_add_u64 v[0:1], v[0:1], 0, s[10:11]
	global_load_dwordx2 v[10:11], v[0:1], off
	global_load_dwordx2 v[12:13], v[48:49], off offset:1120
	global_load_dwordx2 v[14:15], v[48:49], off offset:1512
	v_lshl_add_u64 v[0:1], v[0:1], 0, s[10:11]
	global_load_dwordx2 v[16:17], v[0:1], off
	v_lshl_add_u64 v[0:1], v[0:1], 0, s[10:11]
	global_load_dwordx2 v[18:19], v[0:1], off
	global_load_dwordx2 v[20:21], v[48:49], off offset:1904
	global_load_dwordx2 v[22:23], v[48:49], off offset:2296
	v_lshl_add_u64 v[0:1], v[0:1], 0, s[10:11]
	global_load_dwordx2 v[0:1], v[0:1], off
	s_waitcnt vmcnt(10)
	v_mul_f32_e32 v24, v3, v5
	v_mul_f32_e32 v5, v2, v5
	v_fmac_f32_e32 v24, v2, v4
	v_fma_f32 v25, v3, v4, -v5
	s_waitcnt vmcnt(8)
	v_mul_f32_e32 v2, v7, v9
	v_mul_f32_e32 v3, v6, v9
	v_fmac_f32_e32 v2, v6, v8
	v_fma_f32 v3, v7, v8, -v3
	s_waitcnt vmcnt(6)
	v_mul_f32_e32 v4, v11, v13
	v_mul_f32_e32 v5, v10, v13
	ds_write2_b64 v55, v[24:25], v[2:3] offset0:42 offset1:91
	s_waitcnt vmcnt(4)
	v_mul_f32_e32 v2, v17, v15
	v_mul_f32_e32 v3, v16, v15
	v_fmac_f32_e32 v4, v10, v12
	v_fma_f32 v5, v11, v12, -v5
	v_fmac_f32_e32 v2, v16, v14
	v_fma_f32 v3, v17, v14, -v3
	s_waitcnt vmcnt(2)
	v_mul_f32_e32 v6, v19, v21
	v_mul_f32_e32 v7, v18, v21
	ds_write2_b64 v55, v[4:5], v[2:3] offset0:140 offset1:189
	s_waitcnt vmcnt(0)
	v_mul_f32_e32 v2, v1, v23
	v_mul_f32_e32 v3, v0, v23
	v_fmac_f32_e32 v6, v18, v20
	v_fma_f32 v7, v19, v20, -v7
	v_fmac_f32_e32 v2, v0, v22
	v_fma_f32 v3, v1, v22, -v3
	v_add_u32_e32 v0, 0x400, v55
	ds_write2_b64 v0, v[6:7], v[2:3] offset0:110 offset1:159
.LBB0_3:
	s_or_b64 exec, exec, s[14:15]
	s_waitcnt lgkmcnt(0)
	s_barrier
	ds_read2_b64 v[12:15], v55 offset1:49
	ds_read2_b64 v[16:19], v55 offset0:98 offset1:147
	ds_read2_b64 v[20:23], v55 offset0:196 offset1:245
	s_load_dwordx2 s[0:1], s[0:1], 0x8
                                        ; implicit-def: $vgpr0
                                        ; implicit-def: $vgpr8
                                        ; implicit-def: $vgpr4
	s_and_saveexec_b64 s[8:9], vcc
	s_cbranch_execz .LBB0_5
; %bb.4:
	v_add_u32_e32 v4, 0x400, v55
	ds_read2_b64 v[8:11], v55 offset0:140 offset1:189
	ds_read2_b64 v[0:3], v55 offset0:42 offset1:91
	;; [unrolled: 1-line block ×3, first 2 shown]
.LBB0_5:
	s_or_b64 exec, exec, s[8:9]
	s_waitcnt lgkmcnt(0)
	v_pk_add_f32 v[24:25], v[0:1], v[8:9]
	v_pk_add_f32 v[26:27], v[8:9], v[4:5]
	v_pk_add_f32 v[34:35], v[8:9], v[4:5] neg_lo:[0,1] neg_hi:[0,1]
	v_pk_add_f32 v[38:39], v[10:11], v[6:7]
	s_mov_b32 s8, 0x3f5db3d7
	v_pk_add_f32 v[36:37], v[2:3], v[10:11]
	v_pk_add_f32 v[10:11], v[10:11], v[6:7] neg_lo:[0,1] neg_hi:[0,1]
	v_pk_add_f32 v[8:9], v[24:25], v[4:5]
	v_pk_fma_f32 v[0:1], v[26:27], 0.5, v[0:1] op_sel_hi:[1,0,1] neg_lo:[1,0,0] neg_hi:[1,0,0]
	v_pk_mul_f32 v[4:5], v[34:35], s[8:9] op_sel_hi:[1,0]
	v_pk_fma_f32 v[2:3], v[38:39], 0.5, v[2:3] op_sel_hi:[1,0,1] neg_lo:[1,0,0] neg_hi:[1,0,0]
	v_pk_add_f32 v[24:25], v[0:1], v[4:5] op_sel:[0,1] op_sel_hi:[1,0]
	v_pk_add_f32 v[34:35], v[0:1], v[4:5] op_sel:[0,1] op_sel_hi:[1,0] neg_lo:[0,1] neg_hi:[0,1]
	v_pk_fma_f32 v[4:5], v[10:11], s[8:9], v[2:3] op_sel:[0,0,1] op_sel_hi:[1,0,0]
	s_mov_b32 s10, 0.5
	s_mov_b32 s11, s8
	v_pk_add_f32 v[26:27], v[36:37], v[6:7]
	v_pk_fma_f32 v[2:3], v[10:11], s[8:9], v[2:3] op_sel:[0,0,1] op_sel_hi:[1,0,0] neg_lo:[1,0,0] neg_hi:[1,0,0]
	v_mov_b32_e32 v6, v4
	v_pk_mul_f32 v[4:5], v[4:5], s[10:11] op_sel:[1,0]
	s_mov_b32 s9, s10
	v_pk_add_f32 v[30:31], v[14:15], v[18:19]
	v_mov_b32_e32 v0, v24
	v_mov_b32_e32 v1, v35
	;; [unrolled: 1-line block ×4, first 2 shown]
	v_pk_fma_f32 v[24:25], v[2:3], s[8:9], v[4:5]
	v_pk_fma_f32 v[2:3], v[2:3], s[8:9], v[4:5] op_sel_hi:[0,1,1] neg_lo:[0,0,1] neg_hi:[0,0,1]
	v_pk_add_f32 v[28:29], v[12:13], v[16:17]
	v_mov_b32_e32 v25, v3
	s_mov_b32 s15, 0xbf5db3d7
	s_mov_b32 s14, s8
	v_pk_mul_f32 v[2:3], v[6:7], 0.5 op_sel_hi:[1,0]
	v_pk_add_f32 v[36:37], v[30:31], v[22:23]
	v_pk_add_f32 v[30:31], v[16:17], v[20:21]
	v_pk_add_f32 v[16:17], v[16:17], v[20:21] neg_lo:[0,1] neg_hi:[0,1]
	v_pk_fma_f32 v[2:3], v[6:7], s[14:15], v[2:3] op_sel:[0,0,1] op_sel_hi:[1,1,0] neg_lo:[0,0,1] neg_hi:[0,0,1]
	v_pk_fma_f32 v[12:13], v[30:31], 0.5, v[12:13] op_sel_hi:[1,0,1] neg_lo:[1,0,0] neg_hi:[1,0,0]
	v_pk_mul_f32 v[16:17], v[16:17], s[8:9] op_sel_hi:[1,0]
	v_pk_add_f32 v[4:5], v[34:35], v[2:3]
	v_pk_add_f32 v[2:3], v[34:35], v[2:3] neg_lo:[0,1] neg_hi:[0,1]
	v_pk_add_f32 v[34:35], v[28:29], v[20:21]
	v_pk_add_f32 v[20:21], v[12:13], v[16:17] op_sel:[0,1] op_sel_hi:[1,0]
	v_pk_add_f32 v[16:17], v[12:13], v[16:17] op_sel:[0,1] op_sel_hi:[1,0] neg_lo:[0,1] neg_hi:[0,1]
	v_pk_add_f32 v[12:13], v[18:19], v[22:23]
	v_pk_add_f32 v[10:11], v[0:1], v[24:25]
	v_pk_fma_f32 v[12:13], v[12:13], 0.5, v[14:15] op_sel_hi:[1,0,1] neg_lo:[1,0,0] neg_hi:[1,0,0]
	v_pk_add_f32 v[14:15], v[18:19], v[22:23] neg_lo:[0,1] neg_hi:[0,1]
	v_pk_add_f32 v[0:1], v[0:1], v[24:25] neg_lo:[0,1] neg_hi:[0,1]
	v_pk_fma_f32 v[18:19], v[14:15], s[8:9], v[12:13] op_sel:[0,0,1] op_sel_hi:[1,0,0]
	v_pk_fma_f32 v[12:13], v[14:15], s[8:9], v[12:13] op_sel:[0,0,1] op_sel_hi:[1,0,0] neg_lo:[1,0,0] neg_hi:[1,0,0]
	v_mov_b32_e32 v14, v18
	v_mov_b32_e32 v15, v13
	v_pk_mul_f32 v[22:23], v[14:15], 0.5 op_sel_hi:[1,0]
	v_mul_u32_u24_e32 v24, 6, v50
	v_pk_fma_f32 v[22:23], v[14:15], s[14:15], v[22:23] op_sel:[0,0,1] op_sel_hi:[1,1,0] neg_lo:[0,0,1] neg_hi:[0,0,1]
	v_pk_mul_f32 v[14:15], v[18:19], s[10:11] op_sel:[1,0]
	v_mov_b32_e32 v39, v17
	v_mov_b32_e32 v17, v21
	v_pk_fma_f32 v[18:19], v[12:13], s[8:9], v[14:15]
	v_pk_fma_f32 v[12:13], v[12:13], s[8:9], v[14:15] op_sel_hi:[0,1,1] neg_lo:[0,0,1] neg_hi:[0,0,1]
	v_lshl_add_u64 v[32:33], v[50:51], 0, 42
	v_lshl_add_u32 v67, v24, 3, v66
	v_mov_b32_e32 v38, v20
	v_mov_b32_e32 v19, v13
	v_pk_add_f32 v[12:13], v[16:17], v[22:23]
	v_pk_add_f32 v[14:15], v[34:35], v[36:37] neg_lo:[0,1] neg_hi:[0,1]
	v_pk_add_f32 v[6:7], v[8:9], v[26:27] neg_lo:[0,1] neg_hi:[0,1]
	s_barrier
	v_pk_add_f32 v[28:29], v[34:35], v[36:37]
	v_pk_add_f32 v[30:31], v[38:39], v[18:19]
	ds_write_b128 v67, v[12:15] offset:16
	v_pk_add_f32 v[12:13], v[38:39], v[18:19] neg_lo:[0,1] neg_hi:[0,1]
	v_pk_add_f32 v[14:15], v[16:17], v[22:23] neg_lo:[0,1] neg_hi:[0,1]
	v_mul_u32_u24_e32 v68, 6, v32
	ds_write_b128 v67, v[28:31]
	ds_write_b128 v67, v[12:15] offset:32
	s_and_saveexec_b64 s[8:9], vcc
	s_cbranch_execz .LBB0_7
; %bb.6:
	v_lshl_add_u32 v12, v68, 3, v66
	v_pk_add_f32 v[8:9], v[8:9], v[26:27]
	ds_write_b128 v12, v[8:11]
	ds_write_b128 v12, v[4:7] offset:16
	ds_write_b128 v12, v[0:3] offset:32
.LBB0_7:
	s_or_b64 exec, exec, s[8:9]
	s_movk_i32 s8, 0xab
	v_mul_lo_u16_sdwa v8, v50, s8 dst_sel:DWORD dst_unused:UNUSED_PAD src0_sel:BYTE_0 src1_sel:DWORD
	v_lshrrev_b16_e32 v25, 10, v8
	v_mul_lo_u16_e32 v8, 6, v25
	v_sub_u16_e32 v38, v50, v8
	v_mov_b32_e32 v8, 6
	v_mul_u32_u24_sdwa v8, v38, v8 dst_sel:DWORD dst_unused:UNUSED_PAD src0_sel:BYTE_0 src1_sel:DWORD
	v_lshlrev_b32_e32 v8, 3, v8
	s_waitcnt lgkmcnt(0)
	s_barrier
	global_load_dwordx4 v[20:23], v8, s[0:1] offset:16
	global_load_dwordx4 v[16:19], v8, s[0:1]
	global_load_dwordx4 v[12:15], v8, s[0:1] offset:32
	ds_read2_b64 v[26:29], v55 offset0:84 offset1:126
	ds_read2_b64 v[30:33], v55 offset0:168 offset1:210
	ds_read2_b64 v[34:37], v55 offset1:42
	ds_read_b64 v[8:9], v55 offset:2016
	v_mul_u32_u24_e32 v25, 42, v25
	v_add_u32_sdwa v25, v25, v38 dst_sel:DWORD dst_unused:UNUSED_PAD src0_sel:DWORD src1_sel:BYTE_0
	s_waitcnt lgkmcnt(3)
	v_mov_b32_e32 v38, v27
	s_waitcnt lgkmcnt(2)
	v_mov_b32_e32 v39, v30
	v_mov_b32_e32 v40, v33
	;; [unrolled: 1-line block ×3, first 2 shown]
	v_lshl_add_u32 v51, v25, 3, v66
	s_mov_b32 s10, 0x3eae86e6
	s_mov_b32 s11, 0xbf08b237
	s_mov_b32 s24, 0x3d64c772
	s_mov_b32 s14, s11
	s_mov_b32 s15, s10
	s_mov_b32 s25, 0x3f4a47b2
	s_mov_b32 s22, 0x3f955555
	s_mov_b32 s18, s25
	s_mov_b32 s19, s24
	s_mov_b32 s8, 0x3ee1c552
	s_waitcnt lgkmcnt(0)
	s_barrier
	s_mov_b32 s16, 0x3f5ff5aa
	s_mov_b32 s20, 0x3f3bfb3b
	s_waitcnt vmcnt(2)
	v_mul_f32_e32 v43, v29, v20
	v_mul_f32_e32 v45, v28, v21
	;; [unrolled: 1-line block ×4, first 2 shown]
	s_waitcnt vmcnt(1)
	v_mul_f32_e32 v25, v27, v19
	s_waitcnt vmcnt(0)
	v_mul_f32_e32 v44, v33, v13
	v_mov_b32_e32 v27, v31
	v_mov_b32_e32 v30, v19
	;; [unrolled: 1-line block ×6, first 2 shown]
	v_pk_mul_f32 v[72:73], v[36:37], v[16:17] op_sel_hi:[1,0]
	v_mov_b32_e32 v74, v18
	v_mov_b32_e32 v75, v22
	;; [unrolled: 1-line block ×4, first 2 shown]
	v_pk_mul_f32 v[78:79], v[8:9], v[14:15] op_sel_hi:[1,0]
	v_mov_b32_e32 v46, v15
	v_fma_f32 v42, v26, v18, -v25
	v_pk_mul_f32 v[26:27], v[26:27], v[30:31]
	v_pk_mul_f32 v[28:29], v[32:33], v[28:29]
	v_fma_f32 v44, v32, v12, -v44
	v_pk_fma_f32 v[30:31], v[36:37], v[16:17], v[72:73] op_sel:[0,1,1] op_sel_hi:[1,1,0]
	v_pk_fma_f32 v[36:37], v[36:37], v[16:17], v[72:73] op_sel:[0,1,1] op_sel_hi:[1,1,0] neg_lo:[1,0,0] neg_hi:[1,0,0]
	v_pk_fma_f32 v[32:33], v[8:9], v[46:47], v[78:79] op_sel:[0,0,1] op_sel_hi:[1,0,0]
	v_pk_fma_f32 v[8:9], v[8:9], v[46:47], v[78:79] op_sel:[0,0,1] op_sel_hi:[1,0,0] neg_lo:[1,0,0] neg_hi:[1,0,0]
	v_pk_fma_f32 v[78:79], v[38:39], v[18:19], v[26:27]
	v_pk_fma_f32 v[26:27], v[38:39], v[74:75], v[26:27] neg_lo:[0,0,1] neg_hi:[0,0,1]
	v_pk_fma_f32 v[38:39], v[40:41], v[12:13], v[28:29]
	v_pk_fma_f32 v[28:29], v[40:41], v[76:77], v[28:29] neg_lo:[0,0,1] neg_hi:[0,0,1]
	v_mov_b32_e32 v31, v37
	v_mov_b32_e32 v33, v9
	;; [unrolled: 1-line block ×6, first 2 shown]
	v_pk_add_f32 v[72:73], v[42:43], v[44:45]
	v_mov_b32_e32 v9, v42
	v_pk_add_f32 v[40:41], v[30:31], v[32:33]
	v_pk_add_f32 v[30:31], v[30:31], v[32:33] neg_lo:[0,1] neg_hi:[0,1]
	v_pk_add_f32 v[32:33], v[46:47], v[70:71]
	v_pk_add_f32 v[42:43], v[78:79], v[38:39]
	v_mov_b32_e32 v37, v44
	v_mov_b32_e32 v36, v73
	;; [unrolled: 1-line block ×7, first 2 shown]
	v_pk_add_f32 v[70:71], v[72:73], v[32:33]
	v_pk_add_f32 v[8:9], v[8:9], v[36:37] neg_lo:[0,1] neg_hi:[0,1]
	v_pk_add_f32 v[26:27], v[26:27], v[28:29]
	v_pk_add_f32 v[38:39], v[78:79], v[38:39] neg_lo:[0,1] neg_hi:[0,1]
	v_mov_b32_e32 v47, v31
	v_mov_b32_e32 v75, v40
	;; [unrolled: 1-line block ×7, first 2 shown]
	v_pk_add_f32 v[46:47], v[46:47], v[38:39] neg_lo:[0,1] neg_hi:[0,1]
	v_pk_add_f32 v[74:75], v[74:75], v[72:73] neg_lo:[0,1] neg_hi:[0,1]
	v_mov_b32_e32 v33, v71
	v_mov_b32_e32 v76, v26
	;; [unrolled: 1-line block ×3, first 2 shown]
	v_pk_add_f32 v[26:27], v[70:71], v[26:27]
	v_pk_add_f32 v[36:37], v[44:45], v[8:9] neg_lo:[0,1] neg_hi:[0,1]
	v_pk_add_f32 v[44:45], v[38:39], v[8:9]
	v_pk_mul_f32 v[46:47], v[46:47], s[14:15]
	v_pk_add_f32 v[76:77], v[32:33], v[76:77] neg_lo:[0,1] neg_hi:[0,1]
	v_pk_add_f32 v[34:35], v[34:35], v[26:27]
	v_pk_mul_f32 v[70:71], v[74:75], s[24:25]
	v_pk_mul_f32 v[28:29], v[36:37], s[10:11]
	v_pk_add_f32 v[44:45], v[44:45], v[30:31]
	v_pk_mul_f32 v[74:75], v[76:77], s[18:19]
	v_pk_fma_f32 v[26:27], v[26:27], s[22:23], v[34:35] op_sel_hi:[1,0,1] neg_lo:[1,0,0] neg_hi:[1,0,0]
	v_pk_fma_f32 v[76:77], v[76:77], s[18:19], v[70:71]
	v_pk_fma_f32 v[36:37], v[36:37], s[10:11], v[46:47]
	v_pk_add_f32 v[76:77], v[76:77], v[26:27]
	v_pk_fma_f32 v[36:37], v[44:45], s[8:9], v[36:37] op_sel_hi:[1,0,1]
	v_mov_b32_e32 v39, v9
	v_pk_add_f32 v[78:79], v[76:77], v[36:37]
	v_pk_add_f32 v[36:37], v[76:77], v[36:37] neg_lo:[0,1] neg_hi:[0,1]
	v_mov_b32_e32 v76, v78
	v_mov_b32_e32 v77, v37
	v_mov_b32_e32 v73, v42
	v_mov_b32_e32 v33, v40
	ds_write2_b64 v51, v[34:35], v[76:77] offset1:6
	v_pk_add_f32 v[8:9], v[38:39], v[30:31] neg_lo:[0,1] neg_hi:[0,1]
	v_pk_add_f32 v[30:31], v[72:73], v[32:33] neg_lo:[0,1] neg_hi:[0,1]
	v_mov_b32_e32 v32, v74
	v_mov_b32_e32 v33, v71
	;; [unrolled: 1-line block ×6, first 2 shown]
	v_pk_fma_f32 v[32:33], v[30:31], s[20:21], v[32:33] op_sel_hi:[1,0,1] neg_lo:[1,0,1] neg_hi:[1,0,1]
	v_pk_fma_f32 v[34:35], v[8:9], s[16:17], v[34:35] op_sel_hi:[1,0,1] neg_lo:[1,0,1] neg_hi:[1,0,1]
	;; [unrolled: 1-line block ×4, first 2 shown]
	v_pk_add_f32 v[32:33], v[32:33], v[26:27]
	v_pk_fma_f32 v[34:35], v[44:45], s[8:9], v[34:35] op_sel_hi:[1,0,1]
	v_pk_add_f32 v[26:27], v[30:31], v[26:27]
	v_pk_fma_f32 v[8:9], v[44:45], s[8:9], v[8:9] op_sel_hi:[1,0,1]
	v_pk_add_f32 v[38:39], v[32:33], v[34:35]
	v_pk_add_f32 v[32:33], v[32:33], v[34:35] neg_lo:[0,1] neg_hi:[0,1]
	v_pk_add_f32 v[28:29], v[26:27], v[8:9] neg_lo:[0,1] neg_hi:[0,1]
	v_pk_add_f32 v[8:9], v[26:27], v[8:9]
	v_mov_b32_e32 v35, v33
	v_mov_b32_e32 v27, v9
	;; [unrolled: 1-line block ×6, first 2 shown]
	ds_write2_b64 v51, v[8:9], v[32:33] offset0:24 offset1:30
	v_mov_b32_e32 v37, v79
	v_lshlrev_b32_e32 v8, 3, v24
	ds_write2_b64 v51, v[34:35], v[26:27] offset0:12 offset1:18
	ds_write_b64 v51, v[36:37] offset:288
	s_waitcnt lgkmcnt(0)
	s_barrier
	global_load_dwordx4 v[32:35], v8, s[0:1] offset:304
	global_load_dwordx4 v[28:31], v8, s[0:1] offset:288
	;; [unrolled: 1-line block ×3, first 2 shown]
	ds_read2_b64 v[36:39], v55 offset0:84 offset1:126
	ds_read2_b64 v[40:43], v55 offset0:168 offset1:210
	ds_read2_b64 v[44:47], v55 offset1:42
	ds_read_b64 v[8:9], v55 offset:2016
	s_waitcnt vmcnt(2) lgkmcnt(3)
	v_mul_f32_e32 v69, v39, v33
	s_waitcnt vmcnt(1)
	v_mul_f32_e32 v74, v36, v31
	s_waitcnt vmcnt(0) lgkmcnt(2)
	v_mul_f32_e32 v76, v43, v25
	v_mul_f32_e32 v72, v37, v31
	v_fmac_f32_e32 v74, v37, v30
	v_fma_f32 v37, v42, v24, -v76
	s_waitcnt lgkmcnt(1)
	v_pk_mul_f32 v[76:77], v[46:47], v[28:29] op_sel:[0,1]
	v_fma_f32 v75, v36, v30, -v72
	v_pk_fma_f32 v[78:79], v[46:47], v[28:29], v[76:77] op_sel:[1,0,0] op_sel_hi:[0,1,1]
	v_pk_fma_f32 v[46:47], v[46:47], v[28:29], v[76:77] op_sel:[1,0,0] op_sel_hi:[0,0,1] neg_lo:[0,0,1] neg_hi:[0,0,1]
	v_mov_b32_e32 v46, v27
	v_mul_f32_e32 v36, v42, v25
	s_waitcnt lgkmcnt(0)
	v_pk_mul_f32 v[76:77], v[8:9], v[46:47] op_sel_hi:[1,0]
	v_mul_f32_e32 v71, v38, v33
	v_mul_f32_e32 v70, v41, v35
	;; [unrolled: 1-line block ×3, first 2 shown]
	v_fmac_f32_e32 v36, v43, v24
	v_pk_fma_f32 v[80:81], v[8:9], v[26:27], v[76:77] op_sel:[1,0,0] op_sel_hi:[0,1,1]
	v_pk_fma_f32 v[8:9], v[8:9], v[26:27], v[76:77] op_sel:[1,0,0] op_sel_hi:[0,0,1] neg_lo:[0,0,1] neg_hi:[0,0,1]
	v_fma_f32 v38, v38, v32, -v69
	v_fmac_f32_e32 v71, v39, v32
	v_fma_f32 v40, v40, v34, -v70
	v_fmac_f32_e32 v73, v41, v34
	v_mov_b32_e32 v79, v47
	v_mov_b32_e32 v81, v9
	;; [unrolled: 1-line block ×4, first 2 shown]
	v_add_f32_e32 v42, v75, v37
	v_pk_add_f32 v[76:77], v[78:79], v[80:81]
	v_pk_add_f32 v[78:79], v[78:79], v[80:81] neg_lo:[0,1] neg_hi:[0,1]
	v_pk_add_f32 v[80:81], v[74:75], v[36:37] neg_lo:[0,1] neg_hi:[0,1]
	v_pk_add_f32 v[36:37], v[38:39], v[40:41]
	v_mov_b32_e32 v70, v47
	v_mov_b32_e32 v72, v9
	;; [unrolled: 1-line block ×6, first 2 shown]
	v_pk_add_f32 v[46:47], v[70:71], v[72:73]
	v_pk_add_f32 v[8:9], v[8:9], v[40:41] neg_lo:[0,1] neg_hi:[0,1]
	v_add_f32_e32 v38, v42, v46
	v_mov_b32_e32 v39, v76
	v_mov_b32_e32 v72, v8
	;; [unrolled: 1-line block ×5, first 2 shown]
	v_pk_add_f32 v[40:41], v[36:37], v[38:39]
	v_pk_add_f32 v[70:71], v[8:9], v[80:81]
	v_pk_add_f32 v[72:73], v[72:73], v[74:75] neg_lo:[0,1] neg_hi:[0,1]
	v_mov_b32_e32 v74, v78
	v_mov_b32_e32 v9, v81
	v_pk_add_f32 v[74:75], v[74:75], v[8:9] neg_lo:[0,1] neg_hi:[0,1]
	v_mov_b32_e32 v8, v36
	v_mov_b32_e32 v9, v76
	;; [unrolled: 1-line block ×5, first 2 shown]
	v_pk_add_f32 v[8:9], v[8:9], v[42:43] neg_lo:[0,1] neg_hi:[0,1]
	v_pk_add_f32 v[38:39], v[38:39], v[40:41]
	v_pk_add_f32 v[40:41], v[46:47], v[36:37] neg_lo:[0,1] neg_hi:[0,1]
	v_pk_add_f32 v[44:45], v[44:45], v[38:39]
	v_pk_mul_f32 v[82:83], v[8:9], s[24:25]
	v_pk_mul_f32 v[72:73], v[72:73], s[14:15]
	v_pk_add_f32 v[70:71], v[70:71], v[78:79]
	v_pk_fma_f32 v[38:39], v[38:39], s[22:23], v[44:45] op_sel_hi:[1,0,1] neg_lo:[1,0,0] neg_hi:[1,0,0]
	v_pk_fma_f32 v[8:9], v[40:41], s[18:19], v[82:83]
	v_pk_fma_f32 v[84:85], v[74:75], s[10:11], v[72:73]
	v_pk_add_f32 v[8:9], v[8:9], v[38:39]
	v_pk_fma_f32 v[84:85], v[70:71], s[8:9], v[84:85] op_sel_hi:[1,0,1]
	v_pk_mul_f32 v[40:41], v[40:41], s[18:19]
	v_pk_add_f32 v[86:87], v[8:9], v[84:85] neg_lo:[0,1] neg_hi:[0,1]
	v_pk_add_f32 v[84:85], v[8:9], v[84:85]
	v_mov_b32_e32 v43, v37
	v_mov_b32_e32 v9, v85
	;; [unrolled: 1-line block ×3, first 2 shown]
	ds_write2_b64 v55, v[44:45], v[84:85] offset1:42
	v_pk_mul_f32 v[44:45], v[74:75], s[10:11]
	v_mov_b32_e32 v47, v76
	v_pk_add_f32 v[36:37], v[42:43], v[46:47] neg_lo:[0,1] neg_hi:[0,1]
	v_pk_add_f32 v[42:43], v[80:81], v[78:79] neg_lo:[0,1] neg_hi:[0,1]
	v_mov_b32_e32 v46, v40
	v_mov_b32_e32 v47, v83
	;; [unrolled: 1-line block ×6, first 2 shown]
	v_pk_fma_f32 v[46:47], v[36:37], s[20:21], v[46:47] op_sel_hi:[1,0,1] neg_lo:[1,0,1] neg_hi:[1,0,1]
	v_pk_fma_f32 v[74:75], v[42:43], s[16:17], v[74:75] op_sel_hi:[1,0,1] neg_lo:[1,0,1] neg_hi:[1,0,1]
	;; [unrolled: 1-line block ×4, first 2 shown]
	v_pk_add_f32 v[46:47], v[46:47], v[38:39]
	v_pk_fma_f32 v[74:75], v[70:71], s[8:9], v[74:75] op_sel_hi:[1,0,1]
	v_pk_add_f32 v[36:37], v[36:37], v[38:39]
	v_pk_fma_f32 v[38:39], v[70:71], s[8:9], v[40:41] op_sel_hi:[1,0,1]
	v_pk_add_f32 v[76:77], v[46:47], v[74:75]
	v_pk_add_f32 v[46:47], v[46:47], v[74:75] neg_lo:[0,1] neg_hi:[0,1]
	v_pk_add_f32 v[40:41], v[36:37], v[38:39] neg_lo:[0,1] neg_hi:[0,1]
	v_pk_add_f32 v[36:37], v[36:37], v[38:39]
	v_mov_b32_e32 v74, v76
	v_mov_b32_e32 v75, v47
	;; [unrolled: 1-line block ×7, first 2 shown]
	ds_write2_b64 v55, v[74:75], v[38:39] offset0:84 offset1:126
	ds_write2_b64 v55, v[36:37], v[46:47] offset0:168 offset1:210
	ds_write_b64 v55, v[8:9] offset:2016
	s_waitcnt lgkmcnt(0)
	s_barrier
	global_load_dwordx2 v[42:43], v[48:49], off offset:2352
	s_add_u32 s8, s12, 0x930
	s_addc_u32 s9, s13, 0
	v_lshlrev_b32_e32 v36, 3, v50
	global_load_dwordx2 v[46:47], v36, s[8:9] offset:392
	global_load_dwordx2 v[70:71], v36, s[8:9] offset:784
	global_load_dwordx2 v[72:73], v36, s[8:9] offset:1176
	global_load_dwordx2 v[74:75], v36, s[8:9] offset:1568
	global_load_dwordx2 v[76:77], v36, s[8:9] offset:1960
	ds_read2_b64 v[38:41], v55 offset1:49
	s_waitcnt vmcnt(5) lgkmcnt(0)
	v_mul_f32_e32 v37, v39, v43
	v_mul_f32_e32 v79, v38, v43
	v_fma_f32 v78, v38, v42, -v37
	v_fmac_f32_e32 v79, v39, v42
	ds_read2_b64 v[42:45], v55 offset0:98 offset1:147
	s_waitcnt vmcnt(4)
	v_mul_f32_e32 v37, v41, v47
	v_mul_f32_e32 v39, v40, v47
	v_fma_f32 v38, v40, v46, -v37
	v_fmac_f32_e32 v39, v41, v46
	ds_write2_b64 v55, v[78:79], v[38:39] offset1:49
	ds_read2_b64 v[38:41], v55 offset0:196 offset1:245
	s_waitcnt vmcnt(3) lgkmcnt(2)
	v_mul_f32_e32 v37, v43, v71
	v_mul_f32_e32 v47, v42, v71
	v_fma_f32 v46, v42, v70, -v37
	v_fmac_f32_e32 v47, v43, v70
	s_waitcnt vmcnt(2)
	v_mul_f32_e32 v37, v45, v73
	v_mul_f32_e32 v43, v44, v73
	v_fma_f32 v42, v44, v72, -v37
	v_fmac_f32_e32 v43, v45, v72
	ds_write2_b64 v55, v[46:47], v[42:43] offset0:98 offset1:147
	s_waitcnt vmcnt(1) lgkmcnt(1)
	v_mul_f32_e32 v37, v39, v75
	v_mul_f32_e32 v43, v38, v75
	v_fma_f32 v42, v38, v74, -v37
	v_fmac_f32_e32 v43, v39, v74
	s_waitcnt vmcnt(0)
	v_mul_f32_e32 v37, v41, v77
	v_mul_f32_e32 v39, v40, v77
	v_fma_f32 v38, v40, v76, -v37
	v_fmac_f32_e32 v39, v41, v76
	ds_write2_b64 v55, v[42:43], v[38:39] offset0:196 offset1:245
	s_and_saveexec_b64 s[0:1], vcc
	s_cbranch_execz .LBB0_9
; %bb.8:
	v_mov_b32_e32 v37, 0
	v_lshl_add_u64 v[36:37], s[8:9], 0, v[36:37]
	global_load_dwordx2 v[70:71], v[36:37], off offset:336
	global_load_dwordx2 v[72:73], v[36:37], off offset:728
	;; [unrolled: 1-line block ×6, first 2 shown]
	v_add_u32_e32 v69, 0x400, v55
	ds_read2_b64 v[36:39], v55 offset0:42 offset1:91
	ds_read2_b64 v[40:43], v55 offset0:140 offset1:189
	;; [unrolled: 1-line block ×3, first 2 shown]
	s_waitcnt vmcnt(5) lgkmcnt(2)
	v_mul_f32_e32 v82, v37, v71
	v_mul_f32_e32 v83, v36, v71
	s_waitcnt vmcnt(4)
	v_mul_f32_e32 v84, v39, v73
	v_mul_f32_e32 v71, v38, v73
	s_waitcnt vmcnt(3) lgkmcnt(1)
	v_mul_f32_e32 v85, v41, v75
	v_mul_f32_e32 v73, v40, v75
	s_waitcnt vmcnt(2)
	v_mul_f32_e32 v86, v43, v77
	v_mul_f32_e32 v75, v42, v77
	;; [unrolled: 6-line block ×3, first 2 shown]
	v_fma_f32 v82, v36, v70, -v82
	v_fmac_f32_e32 v83, v37, v70
	v_fma_f32 v70, v38, v72, -v84
	v_fmac_f32_e32 v71, v39, v72
	;; [unrolled: 2-line block ×6, first 2 shown]
	ds_write2_b64 v55, v[82:83], v[70:71] offset0:42 offset1:91
	ds_write2_b64 v55, v[72:73], v[74:75] offset0:140 offset1:189
	;; [unrolled: 1-line block ×3, first 2 shown]
.LBB0_9:
	s_or_b64 exec, exec, s[0:1]
	s_waitcnt lgkmcnt(0)
	s_barrier
	ds_read2_b64 v[36:39], v55 offset1:49
	ds_read2_b64 v[40:43], v55 offset0:98 offset1:147
	ds_read2_b64 v[44:47], v55 offset0:196 offset1:245
	s_and_saveexec_b64 s[0:1], vcc
	s_cbranch_execz .LBB0_11
; %bb.10:
	v_lshl_add_u32 v0, v50, 3, v66
	ds_read2_b64 v[70:73], v0 offset0:91 offset1:140
	ds_read2_b64 v[74:77], v0 offset0:189 offset1:238
	ds_read_b64 v[8:9], v55 offset:336
	ds_read_b64 v[2:3], v0 offset:2296
	s_waitcnt lgkmcnt(3)
	v_mov_b64_e32 v[4:5], v[72:73]
	s_waitcnt lgkmcnt(2)
	v_mov_b64_e32 v[0:1], v[76:77]
	v_mov_b64_e32 v[10:11], v[70:71]
	;; [unrolled: 1-line block ×3, first 2 shown]
.LBB0_11:
	s_or_b64 exec, exec, s[0:1]
	s_waitcnt lgkmcnt(0)
	v_pk_add_f32 v[74:75], v[42:43], v[46:47]
	s_mov_b32 s8, 0.5
	v_pk_add_f32 v[70:71], v[36:37], v[40:41]
	v_pk_add_f32 v[72:73], v[38:39], v[42:43]
	v_fma_f32 v74, -0.5, v74, v38
	v_pk_add_f32 v[42:43], v[42:43], v[46:47] neg_lo:[0,1] neg_hi:[0,1]
	s_mov_b32 s9, 0x3f5db3d7
	v_fma_f32 v78, -0.5, v75, v39
	v_fmamk_f32 v76, v43, 0xbf5db3d7, v74
	v_fmac_f32_e32 v74, 0x3f5db3d7, v43
	v_fmamk_f32 v80, v42, 0x3f5db3d7, v78
	v_fmac_f32_e32 v78, 0xbf5db3d7, v42
	v_pk_add_f32 v[42:43], v[70:71], v[44:45]
	v_pk_add_f32 v[70:71], v[40:41], v[44:45]
	v_pk_add_f32 v[40:41], v[40:41], v[44:45] neg_lo:[0,1] neg_hi:[0,1]
	s_mov_b32 s10, s9
	v_pk_fma_f32 v[36:37], -0.5, v[70:71], v[36:37] op_sel_hi:[0,1,1]
	v_pk_mul_f32 v[40:41], v[40:41], s[10:11] op_sel_hi:[1,0]
	s_mov_b32 s11, s8
	v_pk_add_f32 v[44:45], v[36:37], v[40:41] op_sel:[0,1] op_sel_hi:[1,0] neg_lo:[0,1] neg_hi:[0,1]
	v_pk_add_f32 v[70:71], v[36:37], v[40:41] op_sel:[0,1] op_sel_hi:[1,0]
	v_pk_mul_f32 v[36:37], v[80:81], s[10:11] op_sel_hi:[0,1]
	v_pk_fma_f32 v[80:81], v[76:77], s[8:9], v[36:37] neg_lo:[0,0,1] neg_hi:[0,0,1]
	v_pk_fma_f32 v[36:37], v[76:77], s[8:9], v[36:37] op_sel_hi:[0,1,1]
	v_pk_add_f32 v[46:47], v[72:73], v[46:47]
	v_mov_b32_e32 v72, v44
	v_mov_b32_e32 v73, v71
	v_mov_b32_e32 v81, v37
	s_mov_b32 s0, -0.5
	v_pk_add_f32 v[38:39], v[42:43], v[46:47]
	v_pk_add_f32 v[40:41], v[72:73], v[80:81]
	s_mov_b32 s1, s9
	v_pk_mul_f32 v[36:37], v[78:79], s[10:11] op_sel_hi:[0,1]
	s_barrier
	ds_write_b128 v67, v[38:41]
	v_pk_fma_f32 v[40:41], v[74:75], s[0:1], v[36:37] op_sel_hi:[0,1,1] neg_lo:[0,0,1] neg_hi:[0,0,1]
	v_mov_b32_e32 v71, v45
	v_pk_add_f32 v[36:37], v[70:71], v[40:41]
	v_pk_add_f32 v[38:39], v[42:43], v[46:47] neg_lo:[0,1] neg_hi:[0,1]
	ds_write_b128 v67, v[36:39] offset:16
	v_pk_add_f32 v[36:37], v[72:73], v[80:81] neg_lo:[0,1] neg_hi:[0,1]
	v_pk_add_f32 v[38:39], v[70:71], v[40:41] neg_lo:[0,1] neg_hi:[0,1]
	ds_write_b128 v67, v[36:39] offset:32
	s_and_saveexec_b64 s[12:13], vcc
	s_cbranch_execz .LBB0_13
; %bb.12:
	v_pk_add_f32 v[36:37], v[6:7], v[2:3]
	v_pk_add_f32 v[38:39], v[6:7], v[2:3] neg_lo:[0,1] neg_hi:[0,1]
	v_fma_f32 v36, -0.5, v36, v10
	v_fma_f32 v42, -0.5, v37, v11
	v_fmamk_f32 v40, v39, 0x3f5db3d7, v36
	v_fmamk_f32 v44, v38, 0xbf5db3d7, v42
	v_fmac_f32_e32 v36, 0xbf5db3d7, v39
	v_fmac_f32_e32 v42, 0x3f5db3d7, v38
	v_pk_add_f32 v[38:39], v[8:9], v[4:5]
	v_pk_add_f32 v[6:7], v[10:11], v[6:7]
	;; [unrolled: 1-line block ×4, first 2 shown]
	v_pk_add_f32 v[0:1], v[4:5], v[0:1] neg_lo:[0,1] neg_hi:[0,1]
	s_mov_b32 s14, s9
	v_pk_fma_f32 v[8:9], -0.5, v[38:39], v[8:9] op_sel_hi:[0,1,1]
	v_pk_mul_f32 v[0:1], v[0:1], s[14:15] op_sel_hi:[1,0]
	v_lshl_add_u32 v37, v68, 3, v66
	v_pk_add_f32 v[38:39], v[8:9], v[0:1] op_sel:[0,1] op_sel_hi:[1,0] neg_lo:[0,1] neg_hi:[0,1]
	v_pk_add_f32 v[8:9], v[8:9], v[0:1] op_sel:[0,1] op_sel_hi:[1,0]
	v_pk_mul_f32 v[0:1], v[42:43], s[10:11] op_sel_hi:[0,1]
	v_pk_fma_f32 v[42:43], v[36:37], s[8:9], v[0:1] neg_lo:[0,0,1] neg_hi:[0,0,1]
	v_pk_fma_f32 v[0:1], v[36:37], s[8:9], v[0:1] op_sel_hi:[0,1,1]
	v_pk_add_f32 v[6:7], v[6:7], v[2:3]
	v_mov_b32_e32 v46, v38
	v_mov_b32_e32 v47, v9
	;; [unrolled: 1-line block ×3, first 2 shown]
	v_pk_add_f32 v[2:3], v[10:11], v[6:7]
	v_pk_add_f32 v[4:5], v[46:47], v[42:43]
	v_pk_mul_f32 v[0:1], v[44:45], s[10:11] op_sel_hi:[0,1]
	ds_write_b128 v37, v[2:5]
	v_pk_fma_f32 v[4:5], v[40:41], s[0:1], v[0:1] op_sel_hi:[0,1,1] neg_lo:[0,0,1] neg_hi:[0,0,1]
	v_mov_b32_e32 v9, v39
	v_pk_add_f32 v[0:1], v[8:9], v[4:5]
	v_pk_add_f32 v[2:3], v[10:11], v[6:7] neg_lo:[0,1] neg_hi:[0,1]
	ds_write_b128 v37, v[0:3] offset:16
	v_pk_add_f32 v[0:1], v[46:47], v[42:43] neg_lo:[0,1] neg_hi:[0,1]
	v_pk_add_f32 v[2:3], v[8:9], v[4:5] neg_lo:[0,1] neg_hi:[0,1]
	ds_write_b128 v37, v[0:3] offset:32
.LBB0_13:
	s_or_b64 exec, exec, s[12:13]
	s_waitcnt lgkmcnt(0)
	s_barrier
	ds_read2_b64 v[2:5], v55 offset0:84 offset1:126
	ds_read2_b64 v[6:9], v55 offset1:42
	ds_read2_b64 v[36:39], v55 offset0:168 offset1:210
	ds_read_b64 v[10:11], v55 offset:2016
	v_mov_b32_e32 v42, v21
	s_mov_b32 s10, 0x3f08b237
	s_mov_b32 s16, 0x3d64c772
	s_waitcnt lgkmcnt(3)
	v_pk_mul_f32 v[44:45], v[20:21], v[4:5] op_sel:[0,1] op_sel_hi:[1,0]
	s_waitcnt lgkmcnt(1)
	v_pk_mul_f32 v[46:47], v[22:23], v[36:37] op_sel:[0,1] op_sel_hi:[1,0]
	v_mov_b32_e32 v44, v45
	v_pk_mul_f32 v[40:41], v[20:21], v[4:5]
	v_pk_mul_f32 v[42:43], v[42:43], v[4:5] op_sel:[0,1] op_sel_hi:[1,0]
	v_pk_fma_f32 v[4:5], v[20:21], v[4:5], v[44:45] op_sel:[0,1,0] op_sel_hi:[1,0,1] neg_lo:[0,0,1] neg_hi:[0,0,1]
	v_mov_b32_e32 v44, v23
	v_mov_b32_e32 v46, v47
	v_pk_mul_f32 v[20:21], v[22:23], v[36:37]
	v_pk_mul_f32 v[44:45], v[44:45], v[36:37] op_sel:[0,1] op_sel_hi:[1,0]
	v_pk_fma_f32 v[22:23], v[22:23], v[36:37], v[46:47] op_sel:[0,1,0] op_sel_hi:[1,0,1] neg_lo:[0,0,1] neg_hi:[0,0,1]
	v_mov_b32_e32 v36, v9
	v_pk_mul_f32 v[46:47], v[16:17], v[8:9] op_sel_hi:[1,0]
	s_mov_b32 s11, 0xbeae86e6
	v_pk_fma_f32 v[36:37], v[16:17], v[36:37], v[46:47] op_sel:[0,0,1] op_sel_hi:[1,1,0] neg_lo:[0,0,1] neg_hi:[0,0,1]
	v_pk_fma_f32 v[8:9], v[16:17], v[8:9], v[46:47] op_sel:[0,1,1] op_sel_hi:[1,1,0]
	v_pk_mul_f32 v[16:17], v[18:19], v[2:3] op_sel_hi:[1,0]
	v_mov_b32_e32 v8, v3
	v_pk_fma_f32 v[2:3], v[18:19], v[2:3], v[16:17] op_sel:[0,1,1] op_sel_hi:[1,1,0]
	v_mov_b32_e32 v37, v9
	v_pk_fma_f32 v[8:9], v[18:19], v[8:9], v[16:17] op_sel:[0,0,1] op_sel_hi:[1,1,0] neg_lo:[0,0,1] neg_hi:[0,0,1]
	v_mov_b32_e32 v2, v39
	v_pk_mul_f32 v[16:17], v[12:13], v[38:39] op_sel_hi:[1,0]
	v_mov_b32_e32 v9, v3
	v_pk_fma_f32 v[2:3], v[12:13], v[2:3], v[16:17] op_sel:[0,0,1] op_sel_hi:[1,1,0] neg_lo:[0,0,1] neg_hi:[0,0,1]
	v_pk_fma_f32 v[12:13], v[12:13], v[38:39], v[16:17] op_sel:[0,1,1] op_sel_hi:[1,1,0]
	s_waitcnt lgkmcnt(0)
	v_pk_mul_f32 v[16:17], v[14:15], v[10:11] op_sel_hi:[1,0]
	v_mov_b32_e32 v12, v11
	v_mov_b32_e32 v3, v13
	v_pk_fma_f32 v[12:13], v[14:15], v[12:13], v[16:17] op_sel:[0,0,1] op_sel_hi:[1,1,0] neg_lo:[0,0,1] neg_hi:[0,0,1]
	v_pk_fma_f32 v[10:11], v[14:15], v[10:11], v[16:17] op_sel:[0,1,1] op_sel_hi:[1,1,0]
	v_mov_b32_e32 v21, v36
	v_mov_b32_e32 v13, v11
	;; [unrolled: 1-line block ×5, first 2 shown]
	v_pk_add_f32 v[10:11], v[36:37], v[12:13]
	v_pk_add_f32 v[14:15], v[36:37], v[12:13] neg_lo:[0,1] neg_hi:[0,1]
	v_pk_add_f32 v[16:17], v[8:9], v[2:3]
	v_pk_add_f32 v[18:19], v[8:9], v[2:3] neg_lo:[0,1] neg_hi:[0,1]
	v_pk_add_f32 v[12:13], v[20:21], v[44:45]
	v_pk_add_f32 v[2:3], v[40:41], v[42:43]
	v_mov_b32_e32 v23, v12
	v_mov_b32_e32 v5, v2
	v_pk_add_f32 v[8:9], v[22:23], v[4:5] neg_lo:[0,1] neg_hi:[0,1]
	v_mov_b32_e32 v40, v17
	v_mov_b32_e32 v41, v4
	;; [unrolled: 1-line block ×4, first 2 shown]
	v_pk_add_f32 v[4:5], v[40:41], v[4:5]
	v_pk_add_f32 v[22:23], v[2:3], v[12:13]
	v_mov_b32_e32 v20, v8
	v_mov_b32_e32 v21, v15
	;; [unrolled: 1-line block ×6, first 2 shown]
	v_pk_add_f32 v[20:21], v[20:21], v[36:37] neg_lo:[0,1] neg_hi:[0,1]
	v_mov_b32_e32 v36, v14
	v_mov_b32_e32 v38, v8
	;; [unrolled: 1-line block ×3, first 2 shown]
	v_pk_add_f32 v[40:41], v[12:13], v[40:41] neg_lo:[0,1] neg_hi:[0,1]
	v_mov_b32_e32 v42, v11
	v_mov_b32_e32 v43, v5
	;; [unrolled: 1-line block ×3, first 2 shown]
	v_pk_add_f32 v[4:5], v[4:5], v[22:23]
	s_mov_b32 s17, 0x3f4a47b2
	v_mov_b32_e32 v0, s2
	v_mov_b32_e32 v1, s3
	v_pk_mul_f32 v[20:21], v[20:21], s[10:11]
	v_pk_add_f32 v[36:37], v[36:37], v[38:39] neg_lo:[0,1] neg_hi:[0,1]
	s_mov_b32 s2, s11
	s_mov_b32 s3, s10
	v_pk_add_f32 v[8:9], v[8:9], v[18:19]
	v_pk_add_f32 v[42:43], v[42:43], v[2:3] neg_lo:[0,1] neg_hi:[0,1]
	v_pk_add_f32 v[6:7], v[6:7], v[4:5]
	s_mov_b32 s14, 0x3f955555
	v_pk_mul_f32 v[22:23], v[40:41], s[16:17]
	s_mov_b32 s18, s17
	s_mov_b32 s19, s16
	v_pk_mul_f32 v[38:39], v[36:37], s[2:3]
	v_pk_add_f32 v[8:9], v[8:9], v[14:15]
	s_mov_b32 s0, 0xbee1c552
	v_pk_mul_f32 v[40:41], v[42:43], s[18:19]
	v_pk_fma_f32 v[4:5], v[4:5], s[14:15], v[6:7] op_sel_hi:[1,0,1] neg_lo:[1,0,0] neg_hi:[1,0,0]
	v_pk_fma_f32 v[42:43], v[42:43], s[18:19], v[22:23]
	v_pk_fma_f32 v[36:37], v[36:37], s[2:3], v[20:21]
	v_pk_add_f32 v[42:43], v[42:43], v[4:5]
	v_pk_fma_f32 v[36:37], v[8:9], s[0:1], v[36:37] op_sel_hi:[1,0,1]
	v_mov_b32_e32 v2, v17
	v_pk_add_f32 v[44:45], v[42:43], v[36:37]
	v_pk_add_f32 v[36:37], v[42:43], v[36:37] neg_lo:[0,1] neg_hi:[0,1]
	v_mov_b32_e32 v42, v44
	v_mov_b32_e32 v43, v37
	;; [unrolled: 1-line block ×3, first 2 shown]
	s_barrier
	ds_write2_b64 v51, v[6:7], v[42:43] offset1:6
	v_pk_add_f32 v[6:7], v[18:19], v[14:15] neg_lo:[0,1] neg_hi:[0,1]
	s_mov_b32 s8, 0xbf5ff5aa
	v_pk_add_f32 v[2:3], v[2:3], v[12:13] neg_lo:[0,1] neg_hi:[0,1]
	s_mov_b32 s12, 0x3f3bfb3b
	v_mov_b32_e32 v10, v40
	v_mov_b32_e32 v11, v23
	;; [unrolled: 1-line block ×6, first 2 shown]
	v_pk_fma_f32 v[10:11], v[2:3], s[12:13], v[10:11] op_sel_hi:[1,0,1] neg_lo:[1,0,1] neg_hi:[1,0,1]
	v_pk_fma_f32 v[12:13], v[6:7], s[8:9], v[12:13] op_sel_hi:[1,0,1] neg_lo:[1,0,1] neg_hi:[1,0,1]
	;; [unrolled: 1-line block ×4, first 2 shown]
	v_pk_add_f32 v[10:11], v[10:11], v[4:5]
	v_pk_fma_f32 v[12:13], v[8:9], s[0:1], v[12:13] op_sel_hi:[1,0,1]
	v_pk_add_f32 v[2:3], v[2:3], v[4:5]
	v_pk_fma_f32 v[4:5], v[8:9], s[0:1], v[6:7] op_sel_hi:[1,0,1]
	v_pk_add_f32 v[14:15], v[10:11], v[12:13]
	v_pk_add_f32 v[10:11], v[10:11], v[12:13] neg_lo:[0,1] neg_hi:[0,1]
	v_pk_add_f32 v[6:7], v[2:3], v[4:5] neg_lo:[0,1] neg_hi:[0,1]
	v_pk_add_f32 v[2:3], v[2:3], v[4:5]
	v_mov_b32_e32 v12, v14
	v_mov_b32_e32 v13, v11
	;; [unrolled: 1-line block ×7, first 2 shown]
	ds_write2_b64 v51, v[12:13], v[4:5] offset0:12 offset1:18
	ds_write2_b64 v51, v[2:3], v[10:11] offset0:24 offset1:30
	ds_write_b64 v51, v[36:37] offset:288
	s_waitcnt lgkmcnt(0)
	s_barrier
	ds_read2_b64 v[2:5], v55 offset0:84 offset1:126
	ds_read2_b64 v[6:9], v55 offset1:42
	ds_read2_b64 v[10:13], v55 offset0:168 offset1:210
	ds_read_b64 v[16:17], v55 offset:2016
	v_mov_b32_e32 v20, v33
	v_mad_u64_u32 v[14:15], s[20:21], s6, v54, 0
	s_waitcnt lgkmcnt(3)
	v_pk_mul_f32 v[22:23], v[32:33], v[4:5] op_sel:[0,1] op_sel_hi:[1,0]
	s_waitcnt lgkmcnt(1)
	v_pk_mul_f32 v[36:37], v[34:35], v[10:11] op_sel:[0,1] op_sel_hi:[1,0]
	v_mov_b32_e32 v22, v23
	v_pk_mul_f32 v[18:19], v[32:33], v[4:5]
	v_pk_mul_f32 v[20:21], v[20:21], v[4:5] op_sel:[0,1] op_sel_hi:[1,0]
	v_pk_fma_f32 v[4:5], v[32:33], v[4:5], v[22:23] op_sel:[0,1,0] op_sel_hi:[1,0,1] neg_lo:[0,0,1] neg_hi:[0,0,1]
	v_mov_b32_e32 v32, v35
	v_mov_b32_e32 v36, v37
	v_pk_mul_f32 v[22:23], v[34:35], v[10:11]
	v_pk_mul_f32 v[32:33], v[32:33], v[10:11] op_sel:[0,1] op_sel_hi:[1,0]
	v_pk_fma_f32 v[10:11], v[34:35], v[10:11], v[36:37] op_sel:[0,1,0] op_sel_hi:[1,0,1] neg_lo:[0,0,1] neg_hi:[0,0,1]
	v_pk_mul_f32 v[36:37], v[28:29], v[8:9] op_sel_hi:[1,0]
	v_mov_b32_e32 v34, v9
	v_pk_fma_f32 v[8:9], v[28:29], v[8:9], v[36:37] op_sel:[0,1,1] op_sel_hi:[1,1,0]
	v_pk_fma_f32 v[34:35], v[28:29], v[34:35], v[36:37] op_sel:[0,0,1] op_sel_hi:[1,1,0] neg_lo:[0,0,1] neg_hi:[0,0,1]
	v_mov_b32_e32 v8, v3
	v_pk_mul_f32 v[28:29], v[30:31], v[2:3] op_sel_hi:[1,0]
	v_mov_b32_e32 v35, v9
	v_pk_fma_f32 v[8:9], v[30:31], v[8:9], v[28:29] op_sel:[0,0,1] op_sel_hi:[1,1,0] neg_lo:[0,0,1] neg_hi:[0,0,1]
	v_pk_fma_f32 v[2:3], v[30:31], v[2:3], v[28:29] op_sel:[0,1,1] op_sel_hi:[1,1,0]
	v_pk_mul_f32 v[28:29], v[24:25], v[12:13] op_sel_hi:[1,0]
	v_mov_b32_e32 v2, v13
	v_pk_fma_f32 v[12:13], v[24:25], v[12:13], v[28:29] op_sel:[0,1,1] op_sel_hi:[1,1,0]
	v_mov_b32_e32 v9, v3
	v_pk_fma_f32 v[2:3], v[24:25], v[2:3], v[28:29] op_sel:[0,0,1] op_sel_hi:[1,1,0] neg_lo:[0,0,1] neg_hi:[0,0,1]
	s_waitcnt lgkmcnt(0)
	v_mov_b32_e32 v12, v17
	v_pk_mul_f32 v[24:25], v[26:27], v[16:17] op_sel_hi:[1,0]
	v_mov_b32_e32 v3, v13
	v_pk_fma_f32 v[12:13], v[26:27], v[12:13], v[24:25] op_sel:[0,0,1] op_sel_hi:[1,1,0] neg_lo:[0,0,1] neg_hi:[0,0,1]
	v_pk_fma_f32 v[16:17], v[26:27], v[16:17], v[24:25] op_sel:[0,1,1] op_sel_hi:[1,1,0]
	v_mov_b32_e32 v23, v34
	v_mov_b32_e32 v13, v17
	;; [unrolled: 1-line block ×5, first 2 shown]
	v_pk_add_f32 v[16:17], v[34:35], v[12:13]
	v_pk_add_f32 v[24:25], v[34:35], v[12:13] neg_lo:[0,1] neg_hi:[0,1]
	v_pk_add_f32 v[26:27], v[8:9], v[2:3]
	v_pk_add_f32 v[28:29], v[8:9], v[2:3] neg_lo:[0,1] neg_hi:[0,1]
	v_pk_add_f32 v[12:13], v[22:23], v[32:33]
	v_pk_add_f32 v[2:3], v[18:19], v[20:21]
	v_mov_b32_e32 v11, v12
	v_mov_b32_e32 v5, v2
	v_pk_add_f32 v[8:9], v[10:11], v[4:5] neg_lo:[0,1] neg_hi:[0,1]
	v_mov_b32_e32 v30, v27
	v_mov_b32_e32 v31, v4
	;; [unrolled: 1-line block ×4, first 2 shown]
	v_pk_add_f32 v[4:5], v[30:31], v[4:5]
	v_pk_add_f32 v[10:11], v[2:3], v[12:13]
	v_mov_b32_e32 v18, v8
	v_mov_b32_e32 v19, v25
	v_mov_b32_e32 v20, v28
	v_mov_b32_e32 v21, v9
	v_mov_b32_e32 v12, v10
	v_mov_b32_e32 v31, v5
	v_pk_add_f32 v[18:19], v[18:19], v[20:21] neg_lo:[0,1] neg_hi:[0,1]
	v_mov_b32_e32 v20, v24
	v_mov_b32_e32 v22, v8
	v_mov_b32_e32 v23, v29
	v_pk_add_f32 v[30:31], v[12:13], v[30:31] neg_lo:[0,1] neg_hi:[0,1]
	v_mov_b32_e32 v32, v17
	v_mov_b32_e32 v33, v5
	v_mov_b32_e32 v2, v10
	v_pk_add_f32 v[4:5], v[4:5], v[10:11]
	v_pk_mul_f32 v[18:19], v[18:19], s[10:11]
	v_pk_add_f32 v[20:21], v[20:21], v[22:23] neg_lo:[0,1] neg_hi:[0,1]
	v_pk_add_f32 v[8:9], v[8:9], v[28:29]
	v_pk_add_f32 v[32:33], v[32:33], v[2:3] neg_lo:[0,1] neg_hi:[0,1]
	v_pk_add_f32 v[6:7], v[6:7], v[4:5]
	v_pk_mul_f32 v[10:11], v[30:31], s[16:17]
	v_pk_mul_f32 v[22:23], v[20:21], s[2:3]
	v_pk_add_f32 v[8:9], v[8:9], v[24:25]
	v_pk_mul_f32 v[30:31], v[32:33], s[18:19]
	v_pk_fma_f32 v[4:5], v[4:5], s[14:15], v[6:7] op_sel_hi:[1,0,1] neg_lo:[1,0,0] neg_hi:[1,0,0]
	v_pk_fma_f32 v[32:33], v[32:33], s[18:19], v[10:11]
	v_pk_fma_f32 v[20:21], v[20:21], s[2:3], v[18:19]
	v_pk_add_f32 v[32:33], v[32:33], v[4:5]
	v_pk_fma_f32 v[20:21], v[8:9], s[0:1], v[20:21] op_sel_hi:[1,0,1]
	v_mov_b32_e32 v2, v27
	v_pk_add_f32 v[34:35], v[32:33], v[20:21]
	v_pk_add_f32 v[20:21], v[32:33], v[20:21] neg_lo:[0,1] neg_hi:[0,1]
	v_mov_b32_e32 v32, v34
	v_mov_b32_e32 v33, v21
	;; [unrolled: 1-line block ×3, first 2 shown]
	ds_write2_b64 v55, v[6:7], v[32:33] offset1:42
	v_pk_add_f32 v[6:7], v[28:29], v[24:25] neg_lo:[0,1] neg_hi:[0,1]
	v_pk_add_f32 v[2:3], v[2:3], v[12:13] neg_lo:[0,1] neg_hi:[0,1]
	v_mov_b32_e32 v12, v30
	v_mov_b32_e32 v13, v11
	;; [unrolled: 1-line block ×6, first 2 shown]
	v_pk_fma_f32 v[12:13], v[2:3], s[12:13], v[12:13] op_sel_hi:[1,0,1] neg_lo:[1,0,1] neg_hi:[1,0,1]
	v_pk_fma_f32 v[16:17], v[6:7], s[8:9], v[16:17] op_sel_hi:[1,0,1] neg_lo:[1,0,1] neg_hi:[1,0,1]
	;; [unrolled: 1-line block ×4, first 2 shown]
	v_pk_add_f32 v[12:13], v[12:13], v[4:5]
	v_pk_fma_f32 v[16:17], v[8:9], s[0:1], v[16:17] op_sel_hi:[1,0,1]
	v_pk_add_f32 v[2:3], v[2:3], v[4:5]
	v_pk_fma_f32 v[4:5], v[8:9], s[0:1], v[6:7] op_sel_hi:[1,0,1]
	v_pk_add_f32 v[24:25], v[12:13], v[16:17]
	v_pk_add_f32 v[12:13], v[12:13], v[16:17] neg_lo:[0,1] neg_hi:[0,1]
	v_pk_add_f32 v[6:7], v[2:3], v[4:5] neg_lo:[0,1] neg_hi:[0,1]
	v_pk_add_f32 v[2:3], v[2:3], v[4:5]
	v_mov_b32_e32 v16, v24
	v_mov_b32_e32 v17, v13
	;; [unrolled: 1-line block ×7, first 2 shown]
	ds_write2_b64 v55, v[16:17], v[4:5] offset0:84 offset1:126
	ds_write2_b64 v55, v[2:3], v[12:13] offset0:168 offset1:210
	ds_write_b64 v55, v[20:21] offset:2016
	s_waitcnt lgkmcnt(0)
	s_barrier
	ds_read2_b64 v[2:5], v55 offset1:49
	v_mov_b32_e32 v6, v15
	v_mad_u64_u32 v[6:7], s[0:1], s7, v54, v[6:7]
	v_mov_b32_e32 v15, v6
	s_waitcnt lgkmcnt(0)
	v_mul_f32_e32 v6, v65, v3
	v_fmac_f32_e32 v6, v64, v2
	v_mul_f32_e32 v2, v65, v2
	s_mov_b32 s0, 0x899406f7
	v_fma_f32 v2, v64, v3, -v2
	v_cvt_f64_f32_e32 v[6:7], v6
	s_mov_b32 s1, 0x3f6bdd2b
	v_cvt_f64_f32_e32 v[2:3], v2
	v_mul_f64 v[6:7], v[6:7], s[0:1]
	v_mul_f64 v[2:3], v[2:3], s[0:1]
	v_cvt_f32_f64_e32 v6, v[6:7]
	v_cvt_f32_f64_e32 v7, v[2:3]
	v_mad_u64_u32 v[2:3], s[2:3], s4, v50, 0
	v_mov_b32_e32 v8, v3
	v_mad_u64_u32 v[8:9], s[2:3], s5, v50, v[8:9]
	v_mov_b32_e32 v3, v8
	v_lshl_add_u64 v[0:1], v[14:15], 3, v[0:1]
	v_lshl_add_u64 v[8:9], v[2:3], 3, v[0:1]
	v_mul_f32_e32 v0, v63, v5
	v_fmac_f32_e32 v0, v62, v4
	v_cvt_f64_f32_e32 v[0:1], v0
	v_mul_f64 v[0:1], v[0:1], s[0:1]
	global_store_dwordx2 v[8:9], v[6:7], off
	v_cvt_f32_f64_e32 v6, v[0:1]
	v_mul_f32_e32 v0, v63, v4
	v_fma_f32 v0, v62, v5, -v0
	v_cvt_f64_f32_e32 v[0:1], v0
	v_mul_f64 v[0:1], v[0:1], s[0:1]
	v_cvt_f32_f64_e32 v7, v[0:1]
	ds_read2_b64 v[0:3], v55 offset0:98 offset1:147
	s_mul_i32 s2, s5, 49
	s_mul_hi_u32 s3, s4, 49
	s_add_i32 s3, s3, s2
	s_mul_i32 s2, s4, 49
	s_lshl_b64 s[2:3], s[2:3], 3
	v_lshl_add_u64 v[4:5], v[8:9], 0, s[2:3]
	global_store_dwordx2 v[4:5], v[6:7], off
	s_waitcnt lgkmcnt(0)
	v_mul_f32_e32 v6, v61, v1
	v_fmac_f32_e32 v6, v60, v0
	v_mul_f32_e32 v0, v61, v0
	v_fma_f32 v0, v60, v1, -v0
	v_cvt_f64_f32_e32 v[6:7], v6
	v_cvt_f64_f32_e32 v[0:1], v0
	v_mul_f64 v[6:7], v[6:7], s[0:1]
	v_mul_f64 v[0:1], v[0:1], s[0:1]
	v_cvt_f32_f64_e32 v6, v[6:7]
	v_cvt_f32_f64_e32 v7, v[0:1]
	v_mul_f32_e32 v0, v59, v3
	v_fmac_f32_e32 v0, v58, v2
	v_cvt_f64_f32_e32 v[0:1], v0
	v_lshl_add_u64 v[4:5], v[4:5], 0, s[2:3]
	v_mul_f64 v[0:1], v[0:1], s[0:1]
	global_store_dwordx2 v[4:5], v[6:7], off
	v_cvt_f32_f64_e32 v6, v[0:1]
	v_mul_f32_e32 v0, v59, v2
	v_fma_f32 v0, v58, v3, -v0
	v_cvt_f64_f32_e32 v[8:9], v0
	ds_read2_b64 v[0:3], v55 offset0:196 offset1:245
	v_mul_f64 v[8:9], v[8:9], s[0:1]
	v_cvt_f32_f64_e32 v7, v[8:9]
	v_lshl_add_u64 v[4:5], v[4:5], 0, s[2:3]
	global_store_dwordx2 v[4:5], v[6:7], off
	s_waitcnt lgkmcnt(0)
	v_mul_f32_e32 v6, v57, v1
	v_fmac_f32_e32 v6, v56, v0
	v_mul_f32_e32 v0, v57, v0
	v_fma_f32 v0, v56, v1, -v0
	v_cvt_f64_f32_e32 v[6:7], v6
	v_cvt_f64_f32_e32 v[0:1], v0
	v_mul_f64 v[6:7], v[6:7], s[0:1]
	v_mul_f64 v[0:1], v[0:1], s[0:1]
	v_cvt_f32_f64_e32 v6, v[6:7]
	v_cvt_f32_f64_e32 v7, v[0:1]
	v_lshl_add_u64 v[0:1], v[4:5], 0, s[2:3]
	v_mul_f32_e32 v4, v53, v3
	v_fmac_f32_e32 v4, v52, v2
	v_mul_f32_e32 v2, v53, v2
	v_fma_f32 v2, v52, v3, -v2
	v_cvt_f64_f32_e32 v[4:5], v4
	v_cvt_f64_f32_e32 v[2:3], v2
	v_mul_f64 v[4:5], v[4:5], s[0:1]
	v_mul_f64 v[2:3], v[2:3], s[0:1]
	global_store_dwordx2 v[0:1], v[6:7], off
	v_cvt_f32_f64_e32 v4, v[4:5]
	v_cvt_f32_f64_e32 v5, v[2:3]
	v_lshl_add_u64 v[0:1], v[0:1], 0, s[2:3]
	global_store_dwordx2 v[0:1], v[4:5], off
	s_and_b64 exec, exec, vcc
	s_cbranch_execz .LBB0_15
; %bb.14:
	global_load_dwordx2 v[14:15], v[48:49], off offset:336
	global_load_dwordx2 v[16:17], v[48:49], off offset:728
	;; [unrolled: 1-line block ×6, first 2 shown]
	ds_read2_b64 v[2:5], v55 offset0:42 offset1:91
	v_mov_b32_e32 v10, 0xfffff9a8
	v_add_u32_e32 v11, 0x400, v55
	ds_read2_b64 v[6:9], v55 offset0:140 offset1:189
	v_mad_u64_u32 v[0:1], s[6:7], s4, v10, v[0:1]
	ds_read2_b64 v[10:13], v11 offset0:110 offset1:159
	s_mulk_i32 s5, 0xf9a8
	s_sub_i32 s4, s5, s4
	v_add_u32_e32 v1, s4, v1
	v_lshl_add_u64 v[26:27], v[0:1], 0, s[2:3]
	v_lshl_add_u64 v[28:29], v[26:27], 0, s[2:3]
	;; [unrolled: 1-line block ×5, first 2 shown]
	s_waitcnt vmcnt(5) lgkmcnt(2)
	v_mul_f32_e32 v36, v3, v15
	v_mul_f32_e32 v15, v2, v15
	s_waitcnt vmcnt(4)
	v_mul_f32_e32 v37, v5, v17
	v_mul_f32_e32 v17, v4, v17
	s_waitcnt vmcnt(3) lgkmcnt(1)
	v_mul_f32_e32 v38, v7, v19
	v_mul_f32_e32 v19, v6, v19
	s_waitcnt vmcnt(2)
	v_mul_f32_e32 v39, v9, v21
	v_mul_f32_e32 v21, v8, v21
	;; [unrolled: 6-line block ×3, first 2 shown]
	v_fmac_f32_e32 v36, v2, v14
	v_fma_f32 v14, v14, v3, -v15
	v_fmac_f32_e32 v37, v4, v16
	v_fma_f32 v15, v16, v5, -v17
	;; [unrolled: 2-line block ×6, first 2 shown]
	v_cvt_f64_f32_e32 v[2:3], v36
	v_cvt_f64_f32_e32 v[4:5], v14
	;; [unrolled: 1-line block ×12, first 2 shown]
	v_mul_f64 v[2:3], v[2:3], s[0:1]
	v_mul_f64 v[4:5], v[4:5], s[0:1]
	;; [unrolled: 1-line block ×12, first 2 shown]
	v_cvt_f32_f64_e32 v2, v[2:3]
	v_cvt_f32_f64_e32 v3, v[4:5]
	;; [unrolled: 1-line block ×12, first 2 shown]
	global_store_dwordx2 v[0:1], v[2:3], off
	global_store_dwordx2 v[26:27], v[4:5], off
	;; [unrolled: 1-line block ×6, first 2 shown]
.LBB0_15:
	s_endpgm
	.section	.rodata,"a",@progbits
	.p2align	6, 0x0
	.amdhsa_kernel bluestein_single_fwd_len294_dim1_sp_op_CI_CI
		.amdhsa_group_segment_fixed_size 7056
		.amdhsa_private_segment_fixed_size 0
		.amdhsa_kernarg_size 104
		.amdhsa_user_sgpr_count 2
		.amdhsa_user_sgpr_dispatch_ptr 0
		.amdhsa_user_sgpr_queue_ptr 0
		.amdhsa_user_sgpr_kernarg_segment_ptr 1
		.amdhsa_user_sgpr_dispatch_id 0
		.amdhsa_user_sgpr_kernarg_preload_length 0
		.amdhsa_user_sgpr_kernarg_preload_offset 0
		.amdhsa_user_sgpr_private_segment_size 0
		.amdhsa_uses_dynamic_stack 0
		.amdhsa_enable_private_segment 0
		.amdhsa_system_sgpr_workgroup_id_x 1
		.amdhsa_system_sgpr_workgroup_id_y 0
		.amdhsa_system_sgpr_workgroup_id_z 0
		.amdhsa_system_sgpr_workgroup_info 0
		.amdhsa_system_vgpr_workitem_id 0
		.amdhsa_next_free_vgpr 89
		.amdhsa_next_free_sgpr 26
		.amdhsa_accum_offset 92
		.amdhsa_reserve_vcc 1
		.amdhsa_float_round_mode_32 0
		.amdhsa_float_round_mode_16_64 0
		.amdhsa_float_denorm_mode_32 3
		.amdhsa_float_denorm_mode_16_64 3
		.amdhsa_dx10_clamp 1
		.amdhsa_ieee_mode 1
		.amdhsa_fp16_overflow 0
		.amdhsa_tg_split 0
		.amdhsa_exception_fp_ieee_invalid_op 0
		.amdhsa_exception_fp_denorm_src 0
		.amdhsa_exception_fp_ieee_div_zero 0
		.amdhsa_exception_fp_ieee_overflow 0
		.amdhsa_exception_fp_ieee_underflow 0
		.amdhsa_exception_fp_ieee_inexact 0
		.amdhsa_exception_int_div_zero 0
	.end_amdhsa_kernel
	.text
.Lfunc_end0:
	.size	bluestein_single_fwd_len294_dim1_sp_op_CI_CI, .Lfunc_end0-bluestein_single_fwd_len294_dim1_sp_op_CI_CI
                                        ; -- End function
	.section	.AMDGPU.csdata,"",@progbits
; Kernel info:
; codeLenInByte = 7300
; NumSgprs: 32
; NumVgprs: 89
; NumAgprs: 0
; TotalNumVgprs: 89
; ScratchSize: 0
; MemoryBound: 0
; FloatMode: 240
; IeeeMode: 1
; LDSByteSize: 7056 bytes/workgroup (compile time only)
; SGPRBlocks: 3
; VGPRBlocks: 11
; NumSGPRsForWavesPerEU: 32
; NumVGPRsForWavesPerEU: 89
; AccumOffset: 92
; Occupancy: 5
; WaveLimiterHint : 1
; COMPUTE_PGM_RSRC2:SCRATCH_EN: 0
; COMPUTE_PGM_RSRC2:USER_SGPR: 2
; COMPUTE_PGM_RSRC2:TRAP_HANDLER: 0
; COMPUTE_PGM_RSRC2:TGID_X_EN: 1
; COMPUTE_PGM_RSRC2:TGID_Y_EN: 0
; COMPUTE_PGM_RSRC2:TGID_Z_EN: 0
; COMPUTE_PGM_RSRC2:TIDIG_COMP_CNT: 0
; COMPUTE_PGM_RSRC3_GFX90A:ACCUM_OFFSET: 22
; COMPUTE_PGM_RSRC3_GFX90A:TG_SPLIT: 0
	.text
	.p2alignl 6, 3212836864
	.fill 256, 4, 3212836864
	.type	__hip_cuid_92611a7eeb1ff31a,@object ; @__hip_cuid_92611a7eeb1ff31a
	.section	.bss,"aw",@nobits
	.globl	__hip_cuid_92611a7eeb1ff31a
__hip_cuid_92611a7eeb1ff31a:
	.byte	0                               ; 0x0
	.size	__hip_cuid_92611a7eeb1ff31a, 1

	.ident	"AMD clang version 19.0.0git (https://github.com/RadeonOpenCompute/llvm-project roc-6.4.0 25133 c7fe45cf4b819c5991fe208aaa96edf142730f1d)"
	.section	".note.GNU-stack","",@progbits
	.addrsig
	.addrsig_sym __hip_cuid_92611a7eeb1ff31a
	.amdgpu_metadata
---
amdhsa.kernels:
  - .agpr_count:     0
    .args:
      - .actual_access:  read_only
        .address_space:  global
        .offset:         0
        .size:           8
        .value_kind:     global_buffer
      - .actual_access:  read_only
        .address_space:  global
        .offset:         8
        .size:           8
        .value_kind:     global_buffer
      - .actual_access:  read_only
        .address_space:  global
        .offset:         16
        .size:           8
        .value_kind:     global_buffer
      - .actual_access:  read_only
        .address_space:  global
        .offset:         24
        .size:           8
        .value_kind:     global_buffer
      - .actual_access:  read_only
        .address_space:  global
        .offset:         32
        .size:           8
        .value_kind:     global_buffer
      - .offset:         40
        .size:           8
        .value_kind:     by_value
      - .address_space:  global
        .offset:         48
        .size:           8
        .value_kind:     global_buffer
      - .address_space:  global
        .offset:         56
        .size:           8
        .value_kind:     global_buffer
      - .address_space:  global
        .offset:         64
        .size:           8
        .value_kind:     global_buffer
      - .address_space:  global
        .offset:         72
        .size:           8
        .value_kind:     global_buffer
      - .offset:         80
        .size:           4
        .value_kind:     by_value
      - .address_space:  global
        .offset:         88
        .size:           8
        .value_kind:     global_buffer
      - .address_space:  global
        .offset:         96
        .size:           8
        .value_kind:     global_buffer
    .group_segment_fixed_size: 7056
    .kernarg_segment_align: 8
    .kernarg_segment_size: 104
    .language:       OpenCL C
    .language_version:
      - 2
      - 0
    .max_flat_workgroup_size: 126
    .name:           bluestein_single_fwd_len294_dim1_sp_op_CI_CI
    .private_segment_fixed_size: 0
    .sgpr_count:     32
    .sgpr_spill_count: 0
    .symbol:         bluestein_single_fwd_len294_dim1_sp_op_CI_CI.kd
    .uniform_work_group_size: 1
    .uses_dynamic_stack: false
    .vgpr_count:     89
    .vgpr_spill_count: 0
    .wavefront_size: 64
amdhsa.target:   amdgcn-amd-amdhsa--gfx950
amdhsa.version:
  - 1
  - 2
...

	.end_amdgpu_metadata
